;; amdgpu-corpus repo=ROCm/rocFFT kind=compiled arch=gfx1030 opt=O3
	.text
	.amdgcn_target "amdgcn-amd-amdhsa--gfx1030"
	.amdhsa_code_object_version 6
	.protected	fft_rtc_back_len108_factors_6_6_3_wgs_252_tpt_36_halfLds_half_ip_CI_unitstride_sbrr_C2R_dirReg ; -- Begin function fft_rtc_back_len108_factors_6_6_3_wgs_252_tpt_36_halfLds_half_ip_CI_unitstride_sbrr_C2R_dirReg
	.globl	fft_rtc_back_len108_factors_6_6_3_wgs_252_tpt_36_halfLds_half_ip_CI_unitstride_sbrr_C2R_dirReg
	.p2align	8
	.type	fft_rtc_back_len108_factors_6_6_3_wgs_252_tpt_36_halfLds_half_ip_CI_unitstride_sbrr_C2R_dirReg,@function
fft_rtc_back_len108_factors_6_6_3_wgs_252_tpt_36_halfLds_half_ip_CI_unitstride_sbrr_C2R_dirReg: ; @fft_rtc_back_len108_factors_6_6_3_wgs_252_tpt_36_halfLds_half_ip_CI_unitstride_sbrr_C2R_dirReg
; %bb.0:
	s_load_dwordx4 s[8:11], s[4:5], 0x0
	v_mul_u32_u24_e32 v1, 0x71d, v0
	s_clause 0x1
	s_load_dwordx2 s[2:3], s[4:5], 0x50
	s_load_dwordx2 s[12:13], s[4:5], 0x18
	v_mov_b32_e32 v5, 0
	v_mov_b32_e32 v3, 0
	;; [unrolled: 1-line block ×3, first 2 shown]
	v_lshrrev_b32_e32 v1, 16, v1
	v_mad_u64_u32 v[1:2], null, s6, 7, v[1:2]
	v_mov_b32_e32 v2, v5
	v_mov_b32_e32 v10, v2
	;; [unrolled: 1-line block ×3, first 2 shown]
	s_waitcnt lgkmcnt(0)
	v_cmp_lt_u64_e64 s0, s[10:11], 2
	s_and_b32 vcc_lo, exec_lo, s0
	s_cbranch_vccnz .LBB0_8
; %bb.1:
	s_load_dwordx2 s[0:1], s[4:5], 0x10
	v_mov_b32_e32 v3, 0
	v_mov_b32_e32 v8, v2
	s_add_u32 s6, s12, 8
	v_mov_b32_e32 v4, 0
	v_mov_b32_e32 v7, v1
	s_addc_u32 s7, s13, 0
	s_mov_b64 s[16:17], 1
	s_waitcnt lgkmcnt(0)
	s_add_u32 s14, s0, 8
	s_addc_u32 s15, s1, 0
.LBB0_2:                                ; =>This Inner Loop Header: Depth=1
	s_load_dwordx2 s[18:19], s[14:15], 0x0
                                        ; implicit-def: $vgpr9_vgpr10
	s_mov_b32 s0, exec_lo
	s_waitcnt lgkmcnt(0)
	v_or_b32_e32 v6, s19, v8
	v_cmpx_ne_u64_e32 0, v[5:6]
	s_xor_b32 s1, exec_lo, s0
	s_cbranch_execz .LBB0_4
; %bb.3:                                ;   in Loop: Header=BB0_2 Depth=1
	v_cvt_f32_u32_e32 v2, s18
	v_cvt_f32_u32_e32 v6, s19
	s_sub_u32 s0, 0, s18
	s_subb_u32 s20, 0, s19
	v_fmac_f32_e32 v2, 0x4f800000, v6
	v_rcp_f32_e32 v2, v2
	v_mul_f32_e32 v2, 0x5f7ffffc, v2
	v_mul_f32_e32 v6, 0x2f800000, v2
	v_trunc_f32_e32 v6, v6
	v_fmac_f32_e32 v2, 0xcf800000, v6
	v_cvt_u32_f32_e32 v6, v6
	v_cvt_u32_f32_e32 v2, v2
	v_mul_lo_u32 v9, s0, v6
	v_mul_hi_u32 v10, s0, v2
	v_mul_lo_u32 v11, s20, v2
	v_add_nc_u32_e32 v9, v10, v9
	v_mul_lo_u32 v10, s0, v2
	v_add_nc_u32_e32 v9, v9, v11
	v_mul_hi_u32 v11, v2, v10
	v_mul_lo_u32 v12, v2, v9
	v_mul_hi_u32 v13, v2, v9
	v_mul_hi_u32 v14, v6, v10
	v_mul_lo_u32 v10, v6, v10
	v_mul_hi_u32 v15, v6, v9
	v_mul_lo_u32 v9, v6, v9
	v_add_co_u32 v11, vcc_lo, v11, v12
	v_add_co_ci_u32_e32 v12, vcc_lo, 0, v13, vcc_lo
	v_add_co_u32 v10, vcc_lo, v11, v10
	v_add_co_ci_u32_e32 v10, vcc_lo, v12, v14, vcc_lo
	v_add_co_ci_u32_e32 v11, vcc_lo, 0, v15, vcc_lo
	v_add_co_u32 v9, vcc_lo, v10, v9
	v_add_co_ci_u32_e32 v10, vcc_lo, 0, v11, vcc_lo
	v_add_co_u32 v2, vcc_lo, v2, v9
	v_add_co_ci_u32_e32 v6, vcc_lo, v6, v10, vcc_lo
	v_mul_hi_u32 v9, s0, v2
	v_mul_lo_u32 v11, s20, v2
	v_mul_lo_u32 v10, s0, v6
	v_add_nc_u32_e32 v9, v9, v10
	v_mul_lo_u32 v10, s0, v2
	v_add_nc_u32_e32 v9, v9, v11
	v_mul_hi_u32 v11, v2, v10
	v_mul_lo_u32 v12, v2, v9
	v_mul_hi_u32 v13, v2, v9
	v_mul_hi_u32 v14, v6, v10
	v_mul_lo_u32 v10, v6, v10
	v_mul_hi_u32 v15, v6, v9
	v_mul_lo_u32 v9, v6, v9
	v_add_co_u32 v11, vcc_lo, v11, v12
	v_add_co_ci_u32_e32 v12, vcc_lo, 0, v13, vcc_lo
	v_add_co_u32 v10, vcc_lo, v11, v10
	v_add_co_ci_u32_e32 v10, vcc_lo, v12, v14, vcc_lo
	v_add_co_ci_u32_e32 v11, vcc_lo, 0, v15, vcc_lo
	v_add_co_u32 v9, vcc_lo, v10, v9
	v_add_co_ci_u32_e32 v10, vcc_lo, 0, v11, vcc_lo
	v_add_co_u32 v2, vcc_lo, v2, v9
	v_add_co_ci_u32_e32 v6, vcc_lo, v6, v10, vcc_lo
	v_mul_hi_u32 v15, v7, v2
	v_mad_u64_u32 v[11:12], null, v8, v2, 0
	v_mad_u64_u32 v[9:10], null, v7, v6, 0
	v_mad_u64_u32 v[13:14], null, v8, v6, 0
	v_add_co_u32 v2, vcc_lo, v15, v9
	v_add_co_ci_u32_e32 v6, vcc_lo, 0, v10, vcc_lo
	v_add_co_u32 v2, vcc_lo, v2, v11
	v_add_co_ci_u32_e32 v2, vcc_lo, v6, v12, vcc_lo
	v_add_co_ci_u32_e32 v6, vcc_lo, 0, v14, vcc_lo
	v_add_co_u32 v2, vcc_lo, v2, v13
	v_add_co_ci_u32_e32 v6, vcc_lo, 0, v6, vcc_lo
	v_mul_lo_u32 v11, s19, v2
	v_mad_u64_u32 v[9:10], null, s18, v2, 0
	v_mul_lo_u32 v12, s18, v6
	v_sub_co_u32 v9, vcc_lo, v7, v9
	v_add3_u32 v10, v10, v12, v11
	v_sub_nc_u32_e32 v11, v8, v10
	v_subrev_co_ci_u32_e64 v11, s0, s19, v11, vcc_lo
	v_add_co_u32 v12, s0, v2, 2
	v_add_co_ci_u32_e64 v13, s0, 0, v6, s0
	v_sub_co_u32 v14, s0, v9, s18
	v_sub_co_ci_u32_e32 v10, vcc_lo, v8, v10, vcc_lo
	v_subrev_co_ci_u32_e64 v11, s0, 0, v11, s0
	v_cmp_le_u32_e32 vcc_lo, s18, v14
	v_cmp_eq_u32_e64 s0, s19, v10
	v_cndmask_b32_e64 v14, 0, -1, vcc_lo
	v_cmp_le_u32_e32 vcc_lo, s19, v11
	v_cndmask_b32_e64 v15, 0, -1, vcc_lo
	v_cmp_le_u32_e32 vcc_lo, s18, v9
	;; [unrolled: 2-line block ×3, first 2 shown]
	v_cndmask_b32_e64 v16, 0, -1, vcc_lo
	v_cmp_eq_u32_e32 vcc_lo, s19, v11
	v_cndmask_b32_e64 v9, v16, v9, s0
	v_cndmask_b32_e32 v11, v15, v14, vcc_lo
	v_add_co_u32 v14, vcc_lo, v2, 1
	v_add_co_ci_u32_e32 v15, vcc_lo, 0, v6, vcc_lo
	v_cmp_ne_u32_e32 vcc_lo, 0, v11
	v_cndmask_b32_e32 v10, v15, v13, vcc_lo
	v_cndmask_b32_e32 v11, v14, v12, vcc_lo
	v_cmp_ne_u32_e32 vcc_lo, 0, v9
	v_cndmask_b32_e32 v10, v6, v10, vcc_lo
	v_cndmask_b32_e32 v9, v2, v11, vcc_lo
.LBB0_4:                                ;   in Loop: Header=BB0_2 Depth=1
	s_andn2_saveexec_b32 s0, s1
	s_cbranch_execz .LBB0_6
; %bb.5:                                ;   in Loop: Header=BB0_2 Depth=1
	v_cvt_f32_u32_e32 v2, s18
	s_sub_i32 s1, 0, s18
	v_rcp_iflag_f32_e32 v2, v2
	v_mul_f32_e32 v2, 0x4f7ffffe, v2
	v_cvt_u32_f32_e32 v2, v2
	v_mul_lo_u32 v6, s1, v2
	v_mul_hi_u32 v6, v2, v6
	v_add_nc_u32_e32 v2, v2, v6
	v_mul_hi_u32 v2, v7, v2
	v_mul_lo_u32 v6, v2, s18
	v_add_nc_u32_e32 v9, 1, v2
	v_sub_nc_u32_e32 v6, v7, v6
	v_subrev_nc_u32_e32 v10, s18, v6
	v_cmp_le_u32_e32 vcc_lo, s18, v6
	v_cndmask_b32_e32 v6, v6, v10, vcc_lo
	v_cndmask_b32_e32 v2, v2, v9, vcc_lo
	v_mov_b32_e32 v10, v5
	v_cmp_le_u32_e32 vcc_lo, s18, v6
	v_add_nc_u32_e32 v9, 1, v2
	v_cndmask_b32_e32 v9, v2, v9, vcc_lo
.LBB0_6:                                ;   in Loop: Header=BB0_2 Depth=1
	s_or_b32 exec_lo, exec_lo, s0
	s_load_dwordx2 s[0:1], s[6:7], 0x0
	v_mul_lo_u32 v2, v10, s18
	v_mul_lo_u32 v6, v9, s19
	v_mad_u64_u32 v[11:12], null, v9, s18, 0
	s_add_u32 s16, s16, 1
	s_addc_u32 s17, s17, 0
	s_add_u32 s6, s6, 8
	s_addc_u32 s7, s7, 0
	;; [unrolled: 2-line block ×3, first 2 shown]
	v_add3_u32 v2, v12, v6, v2
	v_sub_co_u32 v6, vcc_lo, v7, v11
	v_sub_co_ci_u32_e32 v2, vcc_lo, v8, v2, vcc_lo
	s_waitcnt lgkmcnt(0)
	v_mul_lo_u32 v7, s1, v6
	v_mul_lo_u32 v2, s0, v2
	v_mad_u64_u32 v[3:4], null, s0, v6, v[3:4]
	v_cmp_ge_u64_e64 s0, s[16:17], s[10:11]
	s_and_b32 vcc_lo, exec_lo, s0
	v_add3_u32 v4, v7, v4, v2
	s_cbranch_vccnz .LBB0_8
; %bb.7:                                ;   in Loop: Header=BB0_2 Depth=1
	v_mov_b32_e32 v7, v9
	v_mov_b32_e32 v8, v10
	s_branch .LBB0_2
.LBB0_8:
	v_mul_hi_u32 v2, 0x24924925, v1
	s_lshl_b64 s[0:1], s[10:11], 3
	s_load_dwordx2 s[4:5], s[4:5], 0x20
	s_add_u32 s0, s12, s0
	s_addc_u32 s1, s13, s1
	v_mul_hi_u32 v8, 0x71c71c8, v0
	s_load_dwordx2 s[0:1], s[0:1], 0x0
	v_sub_nc_u32_e32 v5, v1, v2
	v_lshrrev_b32_e32 v5, 1, v5
	v_add_nc_u32_e32 v2, v5, v2
	s_waitcnt lgkmcnt(0)
	v_cmp_gt_u64_e32 vcc_lo, s[4:5], v[9:10]
	v_lshrrev_b32_e32 v2, 2, v2
	v_mul_lo_u32 v5, s0, v10
	v_mul_lo_u32 v7, s1, v9
	;; [unrolled: 1-line block ×3, first 2 shown]
	v_mad_u64_u32 v[2:3], null, s0, v9, v[3:4]
	v_mul_u32_u24_e32 v4, 36, v8
	v_sub_nc_u32_e32 v0, v0, v4
	v_sub_nc_u32_e32 v1, v1, v6
	v_add3_u32 v3, v7, v3, v5
	v_mul_u32_u24_e32 v6, 0x6d, v1
	v_lshlrev_b64 v[2:3], 2, v[2:3]
	v_lshlrev_b32_e32 v10, 2, v6
	s_and_saveexec_b32 s1, vcc_lo
	s_cbranch_execz .LBB0_12
; %bb.9:
	v_mov_b32_e32 v1, 0
	v_add_co_u32 v4, s0, s2, v2
	v_add_co_ci_u32_e64 v5, s0, s3, v3, s0
	v_lshlrev_b64 v[7:8], 2, v[0:1]
	v_lshlrev_b32_e32 v1, 2, v0
	s_mov_b32 s4, exec_lo
	v_add3_u32 v1, 0, v10, v1
	v_add_co_u32 v7, s0, v4, v7
	v_add_co_ci_u32_e64 v8, s0, v5, v8, s0
	s_clause 0x2
	global_load_dword v9, v[7:8], off
	global_load_dword v11, v[7:8], off offset:144
	global_load_dword v7, v[7:8], off offset:288
	s_waitcnt vmcnt(1)
	ds_write2_b32 v1, v9, v11 offset1:36
	s_waitcnt vmcnt(0)
	ds_write_b32 v1, v7 offset:288
	v_cmpx_eq_u32_e32 35, v0
	s_cbranch_execz .LBB0_11
; %bb.10:
	global_load_dword v4, v[4:5], off offset:432
	v_mov_b32_e32 v0, 35
	s_waitcnt vmcnt(0)
	ds_write_b32 v1, v4 offset:292
.LBB0_11:
	s_or_b32 exec_lo, exec_lo, s4
.LBB0_12:
	s_or_b32 exec_lo, exec_lo, s1
	v_lshl_add_u32 v8, v6, 2, 0
	v_lshlrev_b32_e32 v1, 2, v0
	s_waitcnt lgkmcnt(0)
	s_barrier
	buffer_gl0_inv
	s_mov_b32 s1, exec_lo
	v_add_nc_u32_e32 v9, v8, v1
	v_sub_nc_u32_e32 v4, v8, v1
	ds_read_u16 v1, v9
	ds_read_u16 v5, v4 offset:432
	s_waitcnt lgkmcnt(0)
	v_add_f16_e32 v7, v5, v1
	v_sub_f16_e32 v5, v1, v5
	v_cmpx_ne_u32_e32 0, v0
	s_xor_b32 s1, exec_lo, s1
	s_cbranch_execnz .LBB0_25
; %bb.13:
	s_andn2_saveexec_b32 s0, s1
	s_cbranch_execnz .LBB0_26
.LBB0_14:
	s_or_b32 exec_lo, exec_lo, s0
	v_cmp_gt_u32_e64 s0, 18, v0
	s_and_saveexec_b32 s4, s0
	s_cbranch_execz .LBB0_16
.LBB0_15:
	v_mov_b32_e32 v1, 0
	s_add_u32 s1, s8, 0x198
	s_addc_u32 s5, s9, 0
	v_lshlrev_b64 v[11:12], 2, v[0:1]
	v_add_co_u32 v11, s1, s1, v11
	v_add_co_ci_u32_e64 v12, s1, s5, v12, s1
	global_load_dword v1, v[11:12], off offset:144
	ds_read_b32 v5, v9 offset:144
	ds_read_b32 v7, v4 offset:288
	s_waitcnt lgkmcnt(0)
	v_add_f16_e32 v11, v5, v7
	v_add_f16_sdwa v12, v7, v5 dst_sel:DWORD dst_unused:UNUSED_PAD src0_sel:WORD_1 src1_sel:WORD_1
	v_sub_f16_e32 v13, v5, v7
	v_sub_f16_sdwa v5, v5, v7 dst_sel:DWORD dst_unused:UNUSED_PAD src0_sel:WORD_1 src1_sel:WORD_1
	s_waitcnt vmcnt(0)
	v_lshrrev_b32_e32 v14, 16, v1
	v_fma_f16 v7, v13, v14, v11
	v_fma_f16 v15, v12, v14, v5
	v_fma_f16 v11, -v13, v14, v11
	v_fma_f16 v5, v12, v14, -v5
	v_fma_f16 v7, -v1, v12, v7
	v_fmac_f16_e32 v15, v13, v1
	v_fmac_f16_e32 v11, v1, v12
	;; [unrolled: 1-line block ×3, first 2 shown]
	v_pack_b32_f16 v1, v7, v15
	v_pack_b32_f16 v5, v11, v5
	ds_write_b32 v9, v1 offset:144
	ds_write_b32 v4, v5 offset:288
.LBB0_16:
	s_or_b32 exec_lo, exec_lo, s4
	v_lshl_add_u32 v7, v0, 2, 0
	s_waitcnt lgkmcnt(0)
	s_barrier
	buffer_gl0_inv
	v_lshl_add_u32 v1, v6, 2, v7
	s_barrier
	buffer_gl0_inv
	ds_read2_b32 v[4:5], v1 offset0:18 offset1:36
	ds_read2_b32 v[11:12], v1 offset0:54 offset1:72
	ds_read_b32 v6, v9
	ds_read_b32 v13, v1 offset:360
	s_waitcnt lgkmcnt(0)
	s_barrier
	buffer_gl0_inv
	v_pk_add_f16 v16, v4, v11
	v_pk_add_f16 v14, v6, v5
	;; [unrolled: 1-line block ×4, first 2 shown]
	v_pk_add_f16 v18, v11, v13 neg_lo:[0,1] neg_hi:[0,1]
	v_pk_add_f16 v5, v5, v12 neg_lo:[0,1] neg_hi:[0,1]
	v_pk_add_f16 v14, v14, v12
	v_pk_fma_f16 v4, v15, 0.5, v4 op_sel_hi:[1,0,1] neg_lo:[1,0,0] neg_hi:[1,0,0]
	v_pk_fma_f16 v6, v17, 0.5, v6 op_sel_hi:[1,0,1] neg_lo:[1,0,0] neg_hi:[1,0,0]
	v_pk_add_f16 v13, v16, v13
	v_pk_fma_f16 v12, 0x3aee, v18, v4 op_sel:[0,0,1] op_sel_hi:[0,1,0] neg_lo:[0,1,0] neg_hi:[0,1,0]
	v_pk_fma_f16 v15, 0x3aee, v18, v4 op_sel:[0,0,1] op_sel_hi:[0,1,0]
	v_pk_fma_f16 v16, 0x3aee, v5, v6 op_sel:[0,0,1] op_sel_hi:[0,1,0] neg_lo:[0,1,0] neg_hi:[0,1,0]
	v_pk_fma_f16 v5, 0x3aee, v5, v6 op_sel:[0,0,1] op_sel_hi:[0,1,0]
	v_pk_add_f16 v11, v14, v13
	v_lshrrev_b32_e32 v6, 16, v12
	v_pk_mul_f16 v17, 0x3aee, v12 op_sel_hi:[0,1]
	v_mul_f16_e32 v18, 0x3aee, v15
	v_lshrrev_b32_e32 v19, 16, v15
	v_mul_f16_e32 v12, -0.5, v12
	v_pk_add_f16 v4, v14, v13 neg_lo:[0,1] neg_hi:[0,1]
	v_pk_fma_f16 v13, 0xb8003800, v15, v17 op_sel:[0,0,1] op_sel_hi:[1,1,0]
	v_pk_fma_f16 v14, 0xb8003800, v15, v17 op_sel:[0,0,1] op_sel_hi:[1,1,0] neg_lo:[0,0,1] neg_hi:[0,0,1]
	v_fma_f16 v6, v6, 0.5, -v18
	v_fmac_f16_e32 v12, 0x3aee, v19
	v_alignbit_b32 v15, v5, v16, 16
	v_alignbit_b32 v17, v16, v5, 16
	v_bfi_b32 v18, 0xffff, v13, v14
	v_pack_b32_f16 v13, v6, v13
	v_alignbit_b32 v19, v12, v14, 16
	v_add_f16_sdwa v6, v16, v6 dst_sel:DWORD dst_unused:UNUSED_PAD src0_sel:WORD_1 src1_sel:DWORD
	v_add_f16_e32 v14, v16, v12
	v_pk_add_f16 v12, v5, v18
	v_pk_add_f16 v5, v15, v13 neg_lo:[0,1] neg_hi:[0,1]
	v_pk_add_f16 v13, v17, v19 neg_lo:[0,1] neg_hi:[0,1]
	s_and_saveexec_b32 s1, s0
	s_cbranch_execz .LBB0_18
; %bb.17:
	v_mul_u32_u24_e32 v15, 20, v0
	v_perm_b32 v16, v12, v6, 0x5040100
	v_alignbit_b32 v17, v14, v12, 16
	v_add3_u32 v7, v7, v15, v10
	ds_write2_b32 v7, v16, v17 offset0:1 offset1:2
	ds_write2_b32 v7, v4, v5 offset0:3 offset1:4
	ds_write2_b32 v7, v11, v13 offset1:5
.LBB0_18:
	s_or_b32 exec_lo, exec_lo, s1
	v_lshrrev_b32_e32 v15, 16, v11
	v_lshrrev_b32_e32 v7, 16, v12
	;; [unrolled: 1-line block ×5, first 2 shown]
	s_waitcnt lgkmcnt(0)
	s_barrier
	buffer_gl0_inv
	s_and_saveexec_b32 s1, s0
	s_cbranch_execz .LBB0_20
; %bb.19:
	ds_read2_b32 v[6:7], v1 offset0:18 offset1:36
	ds_read2_b32 v[4:5], v1 offset0:54 offset1:72
	ds_read_b32 v13, v1 offset:360
	ds_read_b32 v11, v9
	s_waitcnt lgkmcnt(3)
	v_lshrrev_b32_e32 v12, 16, v6
	v_lshrrev_b32_e32 v14, 16, v7
	s_waitcnt lgkmcnt(2)
	v_lshrrev_b32_e32 v16, 16, v4
	v_lshrrev_b32_e32 v18, 16, v5
	s_waitcnt lgkmcnt(1)
	v_lshrrev_b32_e32 v17, 16, v13
	s_waitcnt lgkmcnt(0)
	v_lshrrev_b32_e32 v15, 16, v11
.LBB0_20:
	s_or_b32 exec_lo, exec_lo, s1
	s_barrier
	buffer_gl0_inv
	s_and_saveexec_b32 s1, s0
	s_cbranch_execz .LBB0_22
; %bb.21:
	v_and_b32_e32 v19, 0xff, v0
	v_mul_lo_u16 v19, 0xab, v19
	v_lshrrev_b16 v23, 10, v19
	v_mul_lo_u16 v19, v23, 6
	v_mul_lo_u16 v23, v23, 36
	v_sub_nc_u16 v19, v0, v19
	v_and_b32_e32 v23, 0xfc, v23
	v_and_b32_e32 v24, 0xff, v19
	v_lshlrev_b32_e32 v23, 2, v23
	v_mul_u32_u24_e32 v19, 5, v24
	v_lshl_add_u32 v24, v24, 2, 0
	v_lshlrev_b32_e32 v25, 2, v19
	v_add3_u32 v10, v24, v23, v10
	s_clause 0x1
	global_load_dwordx4 v[19:22], v25, s[8:9]
	global_load_dword v25, v25, s[8:9] offset:16
	s_waitcnt vmcnt(1)
	v_mul_f16_sdwa v27, v18, v22 dst_sel:DWORD dst_unused:UNUSED_PAD src0_sel:DWORD src1_sel:WORD_1
	v_mul_f16_sdwa v29, v16, v21 dst_sel:DWORD dst_unused:UNUSED_PAD src0_sel:DWORD src1_sel:WORD_1
	v_mul_f16_sdwa v31, v4, v21 dst_sel:DWORD dst_unused:UNUSED_PAD src0_sel:DWORD src1_sel:WORD_1
	s_waitcnt vmcnt(0)
	v_mul_f16_sdwa v32, v13, v25 dst_sel:DWORD dst_unused:UNUSED_PAD src0_sel:DWORD src1_sel:WORD_1
	v_mul_f16_sdwa v23, v7, v20 dst_sel:DWORD dst_unused:UNUSED_PAD src0_sel:DWORD src1_sel:WORD_1
	;; [unrolled: 1-line block ×7, first 2 shown]
	v_fmac_f16_e32 v27, v5, v22
	v_fmac_f16_e32 v29, v4, v21
	v_fma_f16 v4, v16, v21, -v31
	v_fma_f16 v5, v17, v25, -v32
	;; [unrolled: 1-line block ×4, first 2 shown]
	v_fmac_f16_e32 v26, v7, v20
	v_fmac_f16_e32 v28, v6, v19
	v_fmac_f16_e32 v30, v13, v25
	v_fma_f16 v6, v12, v19, -v33
	v_add_f16_e32 v17, v4, v5
	v_add_f16_e32 v7, v14, v18
	v_sub_f16_e32 v16, v4, v5
	v_add_f16_e32 v13, v29, v30
	v_sub_f16_e32 v19, v29, v30
	v_add_f16_e32 v20, v15, v14
	v_add_f16_e32 v4, v6, v4
	;; [unrolled: 1-line block ×3, first 2 shown]
	v_fma_f16 v6, -0.5, v17, v6
	v_add_f16_e32 v22, v11, v26
	v_add_f16_e32 v23, v28, v29
	v_sub_f16_e32 v12, v26, v27
	v_fma_f16 v7, -0.5, v7, v15
	v_fma_f16 v13, -0.5, v13, v28
	v_add_f16_e32 v15, v20, v18
	v_add_f16_e32 v4, v4, v5
	v_fma_f16 v5, -0.5, v21, v11
	v_fmamk_f16 v21, v19, 0xbaee, v6
	v_fmac_f16_e32 v6, 0x3aee, v19
	v_sub_f16_e32 v14, v14, v18
	v_add_f16_e32 v11, v22, v27
	v_add_f16_e32 v17, v23, v30
	v_fmamk_f16 v18, v12, 0xbaee, v7
	v_fmamk_f16 v20, v16, 0x3aee, v13
	v_fmac_f16_e32 v7, 0x3aee, v12
	v_fmac_f16_e32 v13, 0xbaee, v16
	v_sub_f16_e32 v12, v15, v4
	v_add_f16_e32 v4, v15, v4
	v_mul_f16_e32 v15, -0.5, v21
	v_mul_f16_e32 v19, 0.5, v6
	v_mul_f16_e32 v6, 0xbaee, v6
	v_fmamk_f16 v16, v14, 0x3aee, v5
	v_fmac_f16_e32 v5, 0xbaee, v14
	v_sub_f16_e32 v14, v11, v17
	v_add_f16_e32 v11, v11, v17
	v_mul_f16_e32 v17, 0xbaee, v21
	v_fmac_f16_e32 v15, 0x3aee, v20
	v_fmac_f16_e32 v19, 0x3aee, v13
	v_fmac_f16_e32 v6, 0.5, v13
	v_pack_b32_f16 v4, v11, v4
	v_fmac_f16_e32 v17, -0.5, v20
	v_sub_f16_e32 v11, v18, v15
	v_sub_f16_e32 v13, v7, v19
	v_add_f16_e32 v15, v18, v15
	v_add_f16_e32 v7, v7, v19
	;; [unrolled: 1-line block ×4, first 2 shown]
	v_sub_f16_e32 v5, v5, v6
	v_sub_f16_e32 v6, v16, v17
	v_pack_b32_f16 v12, v14, v12
	v_pack_b32_f16 v7, v18, v7
	v_pack_b32_f16 v14, v19, v15
	v_pack_b32_f16 v5, v5, v13
	v_pack_b32_f16 v6, v6, v11
	ds_write2_b32 v10, v4, v7 offset1:6
	ds_write2_b32 v10, v14, v12 offset0:12 offset1:18
	ds_write2_b32 v10, v5, v6 offset0:24 offset1:30
.LBB0_22:
	s_or_b32 exec_lo, exec_lo, s1
	v_lshlrev_b32_e32 v4, 1, v0
	v_mov_b32_e32 v5, 0
	s_waitcnt lgkmcnt(0)
	s_barrier
	buffer_gl0_inv
	v_lshlrev_b64 v[6:7], 2, v[4:5]
	v_add_co_u32 v6, s0, s8, v6
	v_add_co_ci_u32_e64 v7, s0, s9, v7, s0
	global_load_dwordx2 v[6:7], v[6:7], off offset:120
	ds_read2_b32 v[10:11], v1 offset0:36 offset1:72
	ds_read_b32 v4, v9
	s_waitcnt vmcnt(0) lgkmcnt(0)
	s_barrier
	buffer_gl0_inv
	v_lshrrev_b32_e32 v9, 16, v10
	v_lshrrev_b32_e32 v12, 16, v11
	v_mul_f16_sdwa v13, v6, v9 dst_sel:DWORD dst_unused:UNUSED_PAD src0_sel:WORD_1 src1_sel:DWORD
	v_mul_f16_sdwa v14, v7, v12 dst_sel:DWORD dst_unused:UNUSED_PAD src0_sel:WORD_1 src1_sel:DWORD
	v_mul_f16_sdwa v15, v6, v10 dst_sel:DWORD dst_unused:UNUSED_PAD src0_sel:WORD_1 src1_sel:DWORD
	v_mul_f16_sdwa v16, v7, v11 dst_sel:DWORD dst_unused:UNUSED_PAD src0_sel:WORD_1 src1_sel:DWORD
	v_fmac_f16_e32 v13, v6, v10
	v_fmac_f16_e32 v14, v7, v11
	v_fma_f16 v6, v6, v9, -v15
	v_fma_f16 v7, v7, v12, -v16
	v_lshrrev_b32_e32 v9, 16, v4
	v_add_f16_e32 v11, v13, v4
	v_add_f16_e32 v10, v13, v14
	;; [unrolled: 1-line block ×3, first 2 shown]
	v_sub_f16_e32 v15, v6, v7
	v_add_f16_e32 v6, v6, v9
	v_fma_f16 v4, -0.5, v10, v4
	v_sub_f16_e32 v10, v13, v14
	v_fmac_f16_e32 v9, -0.5, v12
	v_add_f16_e32 v11, v11, v14
	v_add_f16_e32 v6, v6, v7
	v_fmamk_f16 v7, v15, 0xbaee, v4
	v_fmac_f16_e32 v4, 0x3aee, v15
	v_fmamk_f16 v12, v10, 0x3aee, v9
	v_fmac_f16_e32 v9, 0xbaee, v10
	v_pack_b32_f16 v6, v11, v6
	v_pack_b32_f16 v7, v7, v12
	;; [unrolled: 1-line block ×3, first 2 shown]
	ds_write2_b32 v1, v6, v7 offset1:36
	ds_write_b32 v1, v4 offset:288
	s_waitcnt lgkmcnt(0)
	s_barrier
	buffer_gl0_inv
	s_and_saveexec_b32 s0, vcc_lo
	s_cbranch_execz .LBB0_24
; %bb.23:
	v_lshl_add_u32 v10, v0, 2, v8
	v_mov_b32_e32 v1, v5
	v_add_nc_u32_e32 v4, 36, v0
	v_add_co_u32 v11, vcc_lo, s2, v2
	ds_read2_b32 v[6:7], v10 offset1:36
	ds_read_b32 v10, v10 offset:288
	v_lshlrev_b64 v[8:9], 2, v[0:1]
	v_lshlrev_b64 v[1:2], 2, v[4:5]
	v_add_nc_u32_e32 v4, 0x48, v0
	v_add_co_ci_u32_e32 v12, vcc_lo, s3, v3, vcc_lo
	v_add_co_u32 v8, vcc_lo, v11, v8
	v_lshlrev_b64 v[3:4], 2, v[4:5]
	v_add_co_ci_u32_e32 v9, vcc_lo, v12, v9, vcc_lo
	v_add_co_u32 v0, vcc_lo, v11, v1
	v_add_co_ci_u32_e32 v1, vcc_lo, v12, v2, vcc_lo
	v_add_co_u32 v2, vcc_lo, v11, v3
	v_add_co_ci_u32_e32 v3, vcc_lo, v12, v4, vcc_lo
	s_waitcnt lgkmcnt(1)
	global_store_dword v[8:9], v6, off
	global_store_dword v[0:1], v7, off
	s_waitcnt lgkmcnt(0)
	global_store_dword v[2:3], v10, off
.LBB0_24:
	s_endpgm
.LBB0_25:
	v_mov_b32_e32 v1, 0
	v_lshlrev_b64 v[11:12], 2, v[0:1]
	v_add_co_u32 v11, s0, s8, v11
	v_add_co_ci_u32_e64 v12, s0, s9, v12, s0
	global_load_dword v1, v[11:12], off offset:408
	ds_read_u16 v11, v4 offset:434
	ds_read_u16 v12, v9 offset:2
	s_waitcnt lgkmcnt(0)
	v_add_f16_e32 v13, v11, v12
	v_sub_f16_e32 v11, v12, v11
	s_waitcnt vmcnt(0)
	v_lshrrev_b32_e32 v14, 16, v1
	v_fma_f16 v12, v5, v14, v7
	v_fma_f16 v15, v13, v14, v11
	v_fma_f16 v7, -v5, v14, v7
	v_fma_f16 v11, v13, v14, -v11
	v_fma_f16 v12, -v1, v13, v12
	v_fmac_f16_e32 v15, v5, v1
	v_fmac_f16_e32 v7, v1, v13
	;; [unrolled: 1-line block ×3, first 2 shown]
	v_pack_b32_f16 v1, v12, v15
	v_pack_b32_f16 v5, v7, v11
                                        ; implicit-def: $vgpr7
	ds_write_b32 v9, v1
	ds_write_b32 v4, v5 offset:432
                                        ; implicit-def: $vgpr5
	s_andn2_saveexec_b32 s0, s1
	s_cbranch_execz .LBB0_14
.LBB0_26:
	v_pack_b32_f16 v1, v7, v5
	ds_write_b32 v9, v1
	ds_read_b32 v1, v8 offset:216
	s_waitcnt lgkmcnt(0)
	v_pk_mul_f16 v1, 0xc0004000, v1
	ds_write_b32 v8, v1 offset:216
	s_or_b32 exec_lo, exec_lo, s0
	v_cmp_gt_u32_e64 s0, 18, v0
	s_and_saveexec_b32 s4, s0
	s_cbranch_execnz .LBB0_15
	s_branch .LBB0_16
	.section	.rodata,"a",@progbits
	.p2align	6, 0x0
	.amdhsa_kernel fft_rtc_back_len108_factors_6_6_3_wgs_252_tpt_36_halfLds_half_ip_CI_unitstride_sbrr_C2R_dirReg
		.amdhsa_group_segment_fixed_size 0
		.amdhsa_private_segment_fixed_size 0
		.amdhsa_kernarg_size 88
		.amdhsa_user_sgpr_count 6
		.amdhsa_user_sgpr_private_segment_buffer 1
		.amdhsa_user_sgpr_dispatch_ptr 0
		.amdhsa_user_sgpr_queue_ptr 0
		.amdhsa_user_sgpr_kernarg_segment_ptr 1
		.amdhsa_user_sgpr_dispatch_id 0
		.amdhsa_user_sgpr_flat_scratch_init 0
		.amdhsa_user_sgpr_private_segment_size 0
		.amdhsa_wavefront_size32 1
		.amdhsa_uses_dynamic_stack 0
		.amdhsa_system_sgpr_private_segment_wavefront_offset 0
		.amdhsa_system_sgpr_workgroup_id_x 1
		.amdhsa_system_sgpr_workgroup_id_y 0
		.amdhsa_system_sgpr_workgroup_id_z 0
		.amdhsa_system_sgpr_workgroup_info 0
		.amdhsa_system_vgpr_workitem_id 0
		.amdhsa_next_free_vgpr 34
		.amdhsa_next_free_sgpr 21
		.amdhsa_reserve_vcc 1
		.amdhsa_reserve_flat_scratch 0
		.amdhsa_float_round_mode_32 0
		.amdhsa_float_round_mode_16_64 0
		.amdhsa_float_denorm_mode_32 3
		.amdhsa_float_denorm_mode_16_64 3
		.amdhsa_dx10_clamp 1
		.amdhsa_ieee_mode 1
		.amdhsa_fp16_overflow 0
		.amdhsa_workgroup_processor_mode 1
		.amdhsa_memory_ordered 1
		.amdhsa_forward_progress 0
		.amdhsa_shared_vgpr_count 0
		.amdhsa_exception_fp_ieee_invalid_op 0
		.amdhsa_exception_fp_denorm_src 0
		.amdhsa_exception_fp_ieee_div_zero 0
		.amdhsa_exception_fp_ieee_overflow 0
		.amdhsa_exception_fp_ieee_underflow 0
		.amdhsa_exception_fp_ieee_inexact 0
		.amdhsa_exception_int_div_zero 0
	.end_amdhsa_kernel
	.text
.Lfunc_end0:
	.size	fft_rtc_back_len108_factors_6_6_3_wgs_252_tpt_36_halfLds_half_ip_CI_unitstride_sbrr_C2R_dirReg, .Lfunc_end0-fft_rtc_back_len108_factors_6_6_3_wgs_252_tpt_36_halfLds_half_ip_CI_unitstride_sbrr_C2R_dirReg
                                        ; -- End function
	.section	.AMDGPU.csdata,"",@progbits
; Kernel info:
; codeLenInByte = 3528
; NumSgprs: 23
; NumVgprs: 34
; ScratchSize: 0
; MemoryBound: 0
; FloatMode: 240
; IeeeMode: 1
; LDSByteSize: 0 bytes/workgroup (compile time only)
; SGPRBlocks: 2
; VGPRBlocks: 4
; NumSGPRsForWavesPerEU: 23
; NumVGPRsForWavesPerEU: 34
; Occupancy: 16
; WaveLimiterHint : 1
; COMPUTE_PGM_RSRC2:SCRATCH_EN: 0
; COMPUTE_PGM_RSRC2:USER_SGPR: 6
; COMPUTE_PGM_RSRC2:TRAP_HANDLER: 0
; COMPUTE_PGM_RSRC2:TGID_X_EN: 1
; COMPUTE_PGM_RSRC2:TGID_Y_EN: 0
; COMPUTE_PGM_RSRC2:TGID_Z_EN: 0
; COMPUTE_PGM_RSRC2:TIDIG_COMP_CNT: 0
	.text
	.p2alignl 6, 3214868480
	.fill 48, 4, 3214868480
	.type	__hip_cuid_809c03cbe72326cc,@object ; @__hip_cuid_809c03cbe72326cc
	.section	.bss,"aw",@nobits
	.globl	__hip_cuid_809c03cbe72326cc
__hip_cuid_809c03cbe72326cc:
	.byte	0                               ; 0x0
	.size	__hip_cuid_809c03cbe72326cc, 1

	.ident	"AMD clang version 19.0.0git (https://github.com/RadeonOpenCompute/llvm-project roc-6.4.0 25133 c7fe45cf4b819c5991fe208aaa96edf142730f1d)"
	.section	".note.GNU-stack","",@progbits
	.addrsig
	.addrsig_sym __hip_cuid_809c03cbe72326cc
	.amdgpu_metadata
---
amdhsa.kernels:
  - .args:
      - .actual_access:  read_only
        .address_space:  global
        .offset:         0
        .size:           8
        .value_kind:     global_buffer
      - .offset:         8
        .size:           8
        .value_kind:     by_value
      - .actual_access:  read_only
        .address_space:  global
        .offset:         16
        .size:           8
        .value_kind:     global_buffer
      - .actual_access:  read_only
        .address_space:  global
        .offset:         24
        .size:           8
        .value_kind:     global_buffer
      - .offset:         32
        .size:           8
        .value_kind:     by_value
      - .actual_access:  read_only
        .address_space:  global
        .offset:         40
        .size:           8
        .value_kind:     global_buffer
      - .actual_access:  read_only
        .address_space:  global
        .offset:         48
        .size:           8
        .value_kind:     global_buffer
      - .offset:         56
        .size:           4
        .value_kind:     by_value
      - .actual_access:  read_only
        .address_space:  global
        .offset:         64
        .size:           8
        .value_kind:     global_buffer
      - .actual_access:  read_only
        .address_space:  global
        .offset:         72
        .size:           8
        .value_kind:     global_buffer
      - .address_space:  global
        .offset:         80
        .size:           8
        .value_kind:     global_buffer
    .group_segment_fixed_size: 0
    .kernarg_segment_align: 8
    .kernarg_segment_size: 88
    .language:       OpenCL C
    .language_version:
      - 2
      - 0
    .max_flat_workgroup_size: 252
    .name:           fft_rtc_back_len108_factors_6_6_3_wgs_252_tpt_36_halfLds_half_ip_CI_unitstride_sbrr_C2R_dirReg
    .private_segment_fixed_size: 0
    .sgpr_count:     23
    .sgpr_spill_count: 0
    .symbol:         fft_rtc_back_len108_factors_6_6_3_wgs_252_tpt_36_halfLds_half_ip_CI_unitstride_sbrr_C2R_dirReg.kd
    .uniform_work_group_size: 1
    .uses_dynamic_stack: false
    .vgpr_count:     34
    .vgpr_spill_count: 0
    .wavefront_size: 32
    .workgroup_processor_mode: 1
amdhsa.target:   amdgcn-amd-amdhsa--gfx1030
amdhsa.version:
  - 1
  - 2
...

	.end_amdgpu_metadata
